;; amdgpu-corpus repo=ROCm/rocFFT kind=compiled arch=gfx1100 opt=O3
	.text
	.amdgcn_target "amdgcn-amd-amdhsa--gfx1100"
	.amdhsa_code_object_version 6
	.protected	fft_rtc_back_len1014_factors_13_6_13_wgs_156_tpt_78_dp_op_CI_CI_unitstride_sbrr_dirReg ; -- Begin function fft_rtc_back_len1014_factors_13_6_13_wgs_156_tpt_78_dp_op_CI_CI_unitstride_sbrr_dirReg
	.globl	fft_rtc_back_len1014_factors_13_6_13_wgs_156_tpt_78_dp_op_CI_CI_unitstride_sbrr_dirReg
	.p2align	8
	.type	fft_rtc_back_len1014_factors_13_6_13_wgs_156_tpt_78_dp_op_CI_CI_unitstride_sbrr_dirReg,@function
fft_rtc_back_len1014_factors_13_6_13_wgs_156_tpt_78_dp_op_CI_CI_unitstride_sbrr_dirReg: ; @fft_rtc_back_len1014_factors_13_6_13_wgs_156_tpt_78_dp_op_CI_CI_unitstride_sbrr_dirReg
; %bb.0:
	s_clause 0x2
	s_load_b128 s[8:11], s[0:1], 0x0
	s_load_b128 s[4:7], s[0:1], 0x58
	;; [unrolled: 1-line block ×3, first 2 shown]
	v_mul_u32_u24_e32 v1, 0x349, v0
	v_mov_b32_e32 v4, 0
	v_mov_b32_e32 v5, 0
	s_delay_alu instid0(VALU_DEP_3) | instskip(SKIP_1) | instid1(VALU_DEP_2)
	v_lshrrev_b32_e32 v99, 16, v1
	v_mov_b32_e32 v1, 0
	v_lshl_add_u32 v6, s15, 1, v99
	s_delay_alu instid0(VALU_DEP_2) | instskip(SKIP_2) | instid1(VALU_DEP_1)
	v_mov_b32_e32 v7, v1
	s_waitcnt lgkmcnt(0)
	v_cmp_lt_u64_e64 s2, s[10:11], 2
	s_and_b32 vcc_lo, exec_lo, s2
	s_cbranch_vccnz .LBB0_8
; %bb.1:
	s_load_b64 s[2:3], s[0:1], 0x10
	v_mov_b32_e32 v4, 0
	v_mov_b32_e32 v5, 0
	s_add_u32 s12, s18, 8
	s_addc_u32 s13, s19, 0
	s_add_u32 s14, s16, 8
	s_addc_u32 s15, s17, 0
	v_dual_mov_b32 v73, v5 :: v_dual_mov_b32 v72, v4
	s_mov_b64 s[22:23], 1
	s_waitcnt lgkmcnt(0)
	s_add_u32 s20, s2, 8
	s_addc_u32 s21, s3, 0
.LBB0_2:                                ; =>This Inner Loop Header: Depth=1
	s_load_b64 s[24:25], s[20:21], 0x0
                                        ; implicit-def: $vgpr74_vgpr75
	s_mov_b32 s2, exec_lo
	s_waitcnt lgkmcnt(0)
	v_or_b32_e32 v2, s25, v7
	s_delay_alu instid0(VALU_DEP_1)
	v_cmpx_ne_u64_e32 0, v[1:2]
	s_xor_b32 s3, exec_lo, s2
	s_cbranch_execz .LBB0_4
; %bb.3:                                ;   in Loop: Header=BB0_2 Depth=1
	v_cvt_f32_u32_e32 v2, s24
	v_cvt_f32_u32_e32 v3, s25
	s_sub_u32 s2, 0, s24
	s_subb_u32 s26, 0, s25
	s_delay_alu instid0(VALU_DEP_1) | instskip(NEXT) | instid1(VALU_DEP_1)
	v_fmac_f32_e32 v2, 0x4f800000, v3
	v_rcp_f32_e32 v2, v2
	s_waitcnt_depctr 0xfff
	v_mul_f32_e32 v2, 0x5f7ffffc, v2
	s_delay_alu instid0(VALU_DEP_1) | instskip(NEXT) | instid1(VALU_DEP_1)
	v_mul_f32_e32 v3, 0x2f800000, v2
	v_trunc_f32_e32 v3, v3
	s_delay_alu instid0(VALU_DEP_1) | instskip(SKIP_1) | instid1(VALU_DEP_2)
	v_fmac_f32_e32 v2, 0xcf800000, v3
	v_cvt_u32_f32_e32 v3, v3
	v_cvt_u32_f32_e32 v2, v2
	s_delay_alu instid0(VALU_DEP_2) | instskip(NEXT) | instid1(VALU_DEP_2)
	v_mul_lo_u32 v8, s2, v3
	v_mul_hi_u32 v9, s2, v2
	v_mul_lo_u32 v10, s26, v2
	s_delay_alu instid0(VALU_DEP_2) | instskip(SKIP_1) | instid1(VALU_DEP_2)
	v_add_nc_u32_e32 v8, v9, v8
	v_mul_lo_u32 v9, s2, v2
	v_add_nc_u32_e32 v8, v8, v10
	s_delay_alu instid0(VALU_DEP_2) | instskip(NEXT) | instid1(VALU_DEP_2)
	v_mul_hi_u32 v10, v2, v9
	v_mul_lo_u32 v11, v2, v8
	v_mul_hi_u32 v12, v2, v8
	v_mul_hi_u32 v13, v3, v9
	v_mul_lo_u32 v9, v3, v9
	v_mul_hi_u32 v14, v3, v8
	v_mul_lo_u32 v8, v3, v8
	v_add_co_u32 v10, vcc_lo, v10, v11
	v_add_co_ci_u32_e32 v11, vcc_lo, 0, v12, vcc_lo
	s_delay_alu instid0(VALU_DEP_2) | instskip(NEXT) | instid1(VALU_DEP_2)
	v_add_co_u32 v9, vcc_lo, v10, v9
	v_add_co_ci_u32_e32 v9, vcc_lo, v11, v13, vcc_lo
	v_add_co_ci_u32_e32 v10, vcc_lo, 0, v14, vcc_lo
	s_delay_alu instid0(VALU_DEP_2) | instskip(NEXT) | instid1(VALU_DEP_2)
	v_add_co_u32 v8, vcc_lo, v9, v8
	v_add_co_ci_u32_e32 v9, vcc_lo, 0, v10, vcc_lo
	s_delay_alu instid0(VALU_DEP_2) | instskip(NEXT) | instid1(VALU_DEP_2)
	v_add_co_u32 v2, vcc_lo, v2, v8
	v_add_co_ci_u32_e32 v3, vcc_lo, v3, v9, vcc_lo
	s_delay_alu instid0(VALU_DEP_2) | instskip(SKIP_1) | instid1(VALU_DEP_3)
	v_mul_hi_u32 v8, s2, v2
	v_mul_lo_u32 v10, s26, v2
	v_mul_lo_u32 v9, s2, v3
	s_delay_alu instid0(VALU_DEP_1) | instskip(SKIP_1) | instid1(VALU_DEP_2)
	v_add_nc_u32_e32 v8, v8, v9
	v_mul_lo_u32 v9, s2, v2
	v_add_nc_u32_e32 v8, v8, v10
	s_delay_alu instid0(VALU_DEP_2) | instskip(NEXT) | instid1(VALU_DEP_2)
	v_mul_hi_u32 v10, v2, v9
	v_mul_lo_u32 v11, v2, v8
	v_mul_hi_u32 v12, v2, v8
	v_mul_hi_u32 v13, v3, v9
	v_mul_lo_u32 v9, v3, v9
	v_mul_hi_u32 v14, v3, v8
	v_mul_lo_u32 v8, v3, v8
	v_add_co_u32 v10, vcc_lo, v10, v11
	v_add_co_ci_u32_e32 v11, vcc_lo, 0, v12, vcc_lo
	s_delay_alu instid0(VALU_DEP_2) | instskip(NEXT) | instid1(VALU_DEP_2)
	v_add_co_u32 v9, vcc_lo, v10, v9
	v_add_co_ci_u32_e32 v9, vcc_lo, v11, v13, vcc_lo
	v_add_co_ci_u32_e32 v10, vcc_lo, 0, v14, vcc_lo
	s_delay_alu instid0(VALU_DEP_2) | instskip(NEXT) | instid1(VALU_DEP_2)
	v_add_co_u32 v8, vcc_lo, v9, v8
	v_add_co_ci_u32_e32 v9, vcc_lo, 0, v10, vcc_lo
	s_delay_alu instid0(VALU_DEP_2) | instskip(NEXT) | instid1(VALU_DEP_2)
	v_add_co_u32 v10, vcc_lo, v2, v8
	v_add_co_ci_u32_e32 v12, vcc_lo, v3, v9, vcc_lo
	s_delay_alu instid0(VALU_DEP_2) | instskip(SKIP_1) | instid1(VALU_DEP_3)
	v_mul_hi_u32 v13, v6, v10
	v_mad_u64_u32 v[8:9], null, v7, v10, 0
	v_mad_u64_u32 v[2:3], null, v6, v12, 0
	;; [unrolled: 1-line block ×3, first 2 shown]
	s_delay_alu instid0(VALU_DEP_2) | instskip(NEXT) | instid1(VALU_DEP_3)
	v_add_co_u32 v2, vcc_lo, v13, v2
	v_add_co_ci_u32_e32 v3, vcc_lo, 0, v3, vcc_lo
	s_delay_alu instid0(VALU_DEP_2) | instskip(NEXT) | instid1(VALU_DEP_2)
	v_add_co_u32 v2, vcc_lo, v2, v8
	v_add_co_ci_u32_e32 v2, vcc_lo, v3, v9, vcc_lo
	v_add_co_ci_u32_e32 v3, vcc_lo, 0, v11, vcc_lo
	s_delay_alu instid0(VALU_DEP_2) | instskip(NEXT) | instid1(VALU_DEP_2)
	v_add_co_u32 v8, vcc_lo, v2, v10
	v_add_co_ci_u32_e32 v9, vcc_lo, 0, v3, vcc_lo
	s_delay_alu instid0(VALU_DEP_2) | instskip(SKIP_1) | instid1(VALU_DEP_3)
	v_mul_lo_u32 v10, s25, v8
	v_mad_u64_u32 v[2:3], null, s24, v8, 0
	v_mul_lo_u32 v11, s24, v9
	s_delay_alu instid0(VALU_DEP_2) | instskip(NEXT) | instid1(VALU_DEP_2)
	v_sub_co_u32 v2, vcc_lo, v6, v2
	v_add3_u32 v3, v3, v11, v10
	s_delay_alu instid0(VALU_DEP_1) | instskip(NEXT) | instid1(VALU_DEP_1)
	v_sub_nc_u32_e32 v10, v7, v3
	v_subrev_co_ci_u32_e64 v10, s2, s25, v10, vcc_lo
	v_add_co_u32 v11, s2, v8, 2
	s_delay_alu instid0(VALU_DEP_1) | instskip(SKIP_3) | instid1(VALU_DEP_3)
	v_add_co_ci_u32_e64 v12, s2, 0, v9, s2
	v_sub_co_u32 v13, s2, v2, s24
	v_sub_co_ci_u32_e32 v3, vcc_lo, v7, v3, vcc_lo
	v_subrev_co_ci_u32_e64 v10, s2, 0, v10, s2
	v_cmp_le_u32_e32 vcc_lo, s24, v13
	s_delay_alu instid0(VALU_DEP_3) | instskip(SKIP_1) | instid1(VALU_DEP_4)
	v_cmp_eq_u32_e64 s2, s25, v3
	v_cndmask_b32_e64 v13, 0, -1, vcc_lo
	v_cmp_le_u32_e32 vcc_lo, s25, v10
	v_cndmask_b32_e64 v14, 0, -1, vcc_lo
	v_cmp_le_u32_e32 vcc_lo, s24, v2
	;; [unrolled: 2-line block ×3, first 2 shown]
	v_cndmask_b32_e64 v15, 0, -1, vcc_lo
	v_cmp_eq_u32_e32 vcc_lo, s25, v10
	s_delay_alu instid0(VALU_DEP_2) | instskip(SKIP_3) | instid1(VALU_DEP_3)
	v_cndmask_b32_e64 v2, v15, v2, s2
	v_cndmask_b32_e32 v10, v14, v13, vcc_lo
	v_add_co_u32 v13, vcc_lo, v8, 1
	v_add_co_ci_u32_e32 v14, vcc_lo, 0, v9, vcc_lo
	v_cmp_ne_u32_e32 vcc_lo, 0, v10
	s_delay_alu instid0(VALU_DEP_2) | instskip(SKIP_1) | instid1(VALU_DEP_2)
	v_dual_cndmask_b32 v3, v14, v12 :: v_dual_cndmask_b32 v10, v13, v11
	v_cmp_ne_u32_e32 vcc_lo, 0, v2
	v_dual_cndmask_b32 v75, v9, v3 :: v_dual_cndmask_b32 v74, v8, v10
.LBB0_4:                                ;   in Loop: Header=BB0_2 Depth=1
	s_and_not1_saveexec_b32 s2, s3
	s_cbranch_execz .LBB0_6
; %bb.5:                                ;   in Loop: Header=BB0_2 Depth=1
	v_cvt_f32_u32_e32 v2, s24
	s_sub_i32 s3, 0, s24
	v_mov_b32_e32 v75, v1
	s_delay_alu instid0(VALU_DEP_2) | instskip(SKIP_2) | instid1(VALU_DEP_1)
	v_rcp_iflag_f32_e32 v2, v2
	s_waitcnt_depctr 0xfff
	v_mul_f32_e32 v2, 0x4f7ffffe, v2
	v_cvt_u32_f32_e32 v2, v2
	s_delay_alu instid0(VALU_DEP_1) | instskip(NEXT) | instid1(VALU_DEP_1)
	v_mul_lo_u32 v3, s3, v2
	v_mul_hi_u32 v3, v2, v3
	s_delay_alu instid0(VALU_DEP_1) | instskip(NEXT) | instid1(VALU_DEP_1)
	v_add_nc_u32_e32 v2, v2, v3
	v_mul_hi_u32 v2, v6, v2
	s_delay_alu instid0(VALU_DEP_1) | instskip(SKIP_1) | instid1(VALU_DEP_2)
	v_mul_lo_u32 v3, v2, s24
	v_add_nc_u32_e32 v8, 1, v2
	v_sub_nc_u32_e32 v3, v6, v3
	s_delay_alu instid0(VALU_DEP_1) | instskip(SKIP_1) | instid1(VALU_DEP_2)
	v_subrev_nc_u32_e32 v9, s24, v3
	v_cmp_le_u32_e32 vcc_lo, s24, v3
	v_dual_cndmask_b32 v3, v3, v9 :: v_dual_cndmask_b32 v2, v2, v8
	s_delay_alu instid0(VALU_DEP_1) | instskip(NEXT) | instid1(VALU_DEP_2)
	v_cmp_le_u32_e32 vcc_lo, s24, v3
	v_add_nc_u32_e32 v8, 1, v2
	s_delay_alu instid0(VALU_DEP_1)
	v_cndmask_b32_e32 v74, v2, v8, vcc_lo
.LBB0_6:                                ;   in Loop: Header=BB0_2 Depth=1
	s_or_b32 exec_lo, exec_lo, s2
	s_delay_alu instid0(VALU_DEP_1) | instskip(NEXT) | instid1(VALU_DEP_2)
	v_mul_lo_u32 v8, v75, s24
	v_mul_lo_u32 v9, v74, s25
	s_load_b64 s[2:3], s[14:15], 0x0
	v_mad_u64_u32 v[2:3], null, v74, s24, 0
	s_load_b64 s[24:25], s[12:13], 0x0
	s_add_u32 s22, s22, 1
	s_addc_u32 s23, s23, 0
	s_add_u32 s12, s12, 8
	s_addc_u32 s13, s13, 0
	s_add_u32 s14, s14, 8
	s_delay_alu instid0(VALU_DEP_1) | instskip(SKIP_3) | instid1(VALU_DEP_2)
	v_add3_u32 v3, v3, v9, v8
	v_sub_co_u32 v8, vcc_lo, v6, v2
	s_addc_u32 s15, s15, 0
	s_add_u32 s20, s20, 8
	v_sub_co_ci_u32_e32 v6, vcc_lo, v7, v3, vcc_lo
	s_addc_u32 s21, s21, 0
	s_waitcnt lgkmcnt(0)
	s_delay_alu instid0(VALU_DEP_1)
	v_mul_lo_u32 v9, s2, v6
	v_mul_lo_u32 v10, s3, v8
	v_mad_u64_u32 v[2:3], null, s2, v8, v[4:5]
	v_mul_lo_u32 v11, s24, v6
	v_mul_lo_u32 v12, s25, v8
	v_mad_u64_u32 v[6:7], null, s24, v8, v[72:73]
	v_cmp_ge_u64_e64 s2, s[22:23], s[10:11]
	v_add3_u32 v5, v10, v3, v9
	v_mov_b32_e32 v4, v2
	s_delay_alu instid0(VALU_DEP_4)
	v_add3_u32 v73, v12, v7, v11
	v_mov_b32_e32 v72, v6
	s_and_b32 vcc_lo, exec_lo, s2
	s_cbranch_vccnz .LBB0_9
; %bb.7:                                ;   in Loop: Header=BB0_2 Depth=1
	v_dual_mov_b32 v6, v74 :: v_dual_mov_b32 v7, v75
	s_branch .LBB0_2
.LBB0_8:
	v_dual_mov_b32 v73, v5 :: v_dual_mov_b32 v72, v4
	v_dual_mov_b32 v75, v7 :: v_dual_mov_b32 v74, v6
.LBB0_9:
	s_load_b64 s[0:1], s[0:1], 0x28
	v_mul_hi_u32 v1, 0x3483484, v0
	s_lshl_b64 s[10:11], s[10:11], 3
                                        ; implicit-def: $sgpr12_sgpr13
                                        ; implicit-def: $vgpr78
	s_delay_alu instid0(SALU_CYCLE_1) | instskip(SKIP_4) | instid1(VALU_DEP_1)
	s_add_u32 s2, s18, s10
	s_addc_u32 s3, s19, s11
	s_waitcnt lgkmcnt(0)
	v_cmp_gt_u64_e32 vcc_lo, s[0:1], v[74:75]
	v_cmp_le_u64_e64 s0, s[0:1], v[74:75]
	s_and_saveexec_b32 s1, s0
	s_delay_alu instid0(SALU_CYCLE_1)
	s_xor_b32 s0, exec_lo, s1
; %bb.10:
	v_mul_u32_u24_e32 v1, 0x4e, v1
	s_mov_b64 s[12:13], 0
                                        ; implicit-def: $vgpr4_vgpr5
	s_delay_alu instid0(VALU_DEP_1)
	v_sub_nc_u32_e32 v78, v0, v1
                                        ; implicit-def: $vgpr1
                                        ; implicit-def: $vgpr0
; %bb.11:
	s_or_saveexec_b32 s1, s0
	v_dual_mov_b32 v77, s13 :: v_dual_mov_b32 v76, s12
                                        ; implicit-def: $vgpr2_vgpr3
                                        ; implicit-def: $vgpr6_vgpr7
                                        ; implicit-def: $vgpr10_vgpr11
                                        ; implicit-def: $vgpr18_vgpr19
                                        ; implicit-def: $vgpr22_vgpr23
                                        ; implicit-def: $vgpr26_vgpr27
                                        ; implicit-def: $vgpr30_vgpr31
                                        ; implicit-def: $vgpr34_vgpr35
                                        ; implicit-def: $vgpr38_vgpr39
                                        ; implicit-def: $vgpr42_vgpr43
                                        ; implicit-def: $vgpr46_vgpr47
                                        ; implicit-def: $vgpr50_vgpr51
                                        ; implicit-def: $vgpr14_vgpr15
	s_xor_b32 exec_lo, exec_lo, s1
	s_cbranch_execz .LBB0_13
; %bb.12:
	s_add_u32 s10, s16, s10
	s_addc_u32 s11, s17, s11
	v_mov_b32_e32 v79, 0
	s_load_b64 s[10:11], s[10:11], 0x0
	s_waitcnt lgkmcnt(0)
	v_mul_lo_u32 v6, s11, v74
	v_mul_lo_u32 v7, s10, v75
	v_mad_u64_u32 v[2:3], null, s10, v74, 0
	s_delay_alu instid0(VALU_DEP_1) | instskip(SKIP_1) | instid1(VALU_DEP_2)
	v_add3_u32 v3, v3, v7, v6
	v_mul_u32_u24_e32 v6, 0x4e, v1
	v_lshlrev_b64 v[1:2], 4, v[2:3]
	v_lshlrev_b64 v[3:4], 4, v[4:5]
	s_delay_alu instid0(VALU_DEP_3) | instskip(NEXT) | instid1(VALU_DEP_3)
	v_sub_nc_u32_e32 v78, v0, v6
	v_add_co_u32 v0, s0, s4, v1
	s_delay_alu instid0(VALU_DEP_1) | instskip(NEXT) | instid1(VALU_DEP_3)
	v_add_co_ci_u32_e64 v1, s0, s5, v2, s0
	v_lshlrev_b32_e32 v2, 4, v78
	s_delay_alu instid0(VALU_DEP_3) | instskip(NEXT) | instid1(VALU_DEP_1)
	v_add_co_u32 v0, s0, v0, v3
	v_add_co_ci_u32_e64 v1, s0, v1, v4, s0
	v_dual_mov_b32 v76, v78 :: v_dual_mov_b32 v77, v79
	s_delay_alu instid0(VALU_DEP_3) | instskip(NEXT) | instid1(VALU_DEP_1)
	v_add_co_u32 v0, s0, v0, v2
	v_add_co_ci_u32_e64 v1, s0, 0, v1, s0
	s_clause 0x3
	global_load_b128 v[12:15], v[0:1], off
	global_load_b128 v[48:51], v[0:1], off offset:1248
	global_load_b128 v[44:47], v[0:1], off offset:2496
	global_load_b128 v[40:43], v[0:1], off offset:3744
	v_add_co_u32 v2, s0, 0x1000, v0
	s_delay_alu instid0(VALU_DEP_1) | instskip(SKIP_1) | instid1(VALU_DEP_1)
	v_add_co_ci_u32_e64 v3, s0, 0, v1, s0
	v_add_co_u32 v4, s0, 0x2000, v0
	v_add_co_ci_u32_e64 v5, s0, 0, v1, s0
	v_add_co_u32 v0, s0, 0x3000, v0
	s_delay_alu instid0(VALU_DEP_1)
	v_add_co_ci_u32_e64 v1, s0, 0, v1, s0
	s_clause 0x8
	global_load_b128 v[36:39], v[2:3], off offset:896
	global_load_b128 v[32:35], v[2:3], off offset:2144
	;; [unrolled: 1-line block ×9, first 2 shown]
.LBB0_13:
	s_or_b32 exec_lo, exec_lo, s1
	s_waitcnt vmcnt(11)
	v_add_f64 v[52:53], v[48:49], v[12:13]
	v_add_f64 v[54:55], v[50:51], v[14:15]
	s_waitcnt vmcnt(0)
	v_add_f64 v[85:86], v[50:51], -v[2:3]
	v_add_f64 v[83:84], v[48:49], -v[0:1]
	;; [unrolled: 1-line block ×10, first 2 shown]
	v_add_f64 v[70:71], v[20:21], v[32:33]
	v_add_f64 v[68:69], v[22:23], v[34:35]
	s_mov_b32 s22, 0x42a4c3d2
	s_mov_b32 s24, 0x66966769
	;; [unrolled: 1-line block ×12, first 2 shown]
	v_add_f64 v[93:94], v[30:31], -v[26:27]
	v_add_f64 v[91:92], v[28:29], -v[24:25]
	v_add_f64 v[62:63], v[24:25], v[28:29]
	s_mov_b32 s0, 0xe00740e9
	s_mov_b32 s4, 0x1ea71119
	;; [unrolled: 1-line block ×9, first 2 shown]
	v_add_f64 v[56:57], v[44:45], v[52:53]
	v_add_f64 v[54:55], v[46:47], v[54:55]
	;; [unrolled: 1-line block ×6, first 2 shown]
	v_mul_f64 v[100:101], v[85:86], s[18:19]
	v_mul_f64 v[102:103], v[85:86], s[22:23]
	;; [unrolled: 1-line block ×9, first 2 shown]
	s_mov_b32 s13, 0xbfd6b1d8
	s_mov_b32 s15, 0xbfe7f3cc
	;; [unrolled: 1-line block ×7, first 2 shown]
	v_mul_f64 v[116:117], v[60:61], s[22:23]
	v_mul_f64 v[136:137], v[60:61], s[20:21]
	;; [unrolled: 1-line block ×10, first 2 shown]
	s_mov_b32 s39, 0x3fedeba7
	s_mov_b32 s38, s20
	v_mul_f64 v[120:121], v[81:82], s[24:25]
	v_mul_f64 v[140:141], v[81:82], s[28:29]
	;; [unrolled: 1-line block ×4, first 2 shown]
	v_add_f64 v[95:96], v[40:41], v[56:57]
	v_add_f64 v[97:98], v[42:43], v[54:55]
	;; [unrolled: 1-line block ×7, first 2 shown]
	v_fma_f64 v[210:211], v[52:53], s[0:1], v[100:101]
	v_fma_f64 v[100:101], v[52:53], s[0:1], -v[100:101]
	v_fma_f64 v[212:213], v[52:53], s[4:5], v[102:103]
	v_fma_f64 v[102:103], v[52:53], s[4:5], -v[102:103]
	;; [unrolled: 2-line block ×6, first 2 shown]
	v_fma_f64 v[222:223], v[48:49], s[12:13], -v[112:113]
	v_fma_f64 v[224:225], v[48:49], s[14:15], -v[114:115]
	v_fma_f64 v[112:113], v[48:49], s[12:13], v[112:113]
	v_fma_f64 v[114:115], v[48:49], s[14:15], v[114:115]
	;; [unrolled: 1-line block ×3, first 2 shown]
	v_mul_f64 v[158:159], v[79:80], s[38:39]
	v_fma_f64 v[242:243], v[50:51], s[16:17], v[152:153]
	v_mul_f64 v[122:123], v[79:80], s[24:25]
	v_mul_f64 v[174:175], v[81:82], s[26:27]
	;; [unrolled: 1-line block ×3, first 2 shown]
	v_fma_f64 v[250:251], v[50:51], s[14:15], v[168:169]
	v_fma_f64 v[252:253], v[50:51], s[10:11], v[170:171]
	v_fma_f64 v[170:171], v[50:51], s[10:11], -v[170:171]
	v_fma_f64 v[136:137], v[50:51], s[12:13], -v[136:137]
	;; [unrolled: 1-line block ×4, first 2 shown]
	s_mov_b32 s41, 0x3fcea1e5
	s_mov_b32 s35, 0x3fea55e2
	;; [unrolled: 1-line block ×3, first 2 shown]
	v_add_f64 v[36:37], v[36:37], v[95:96]
	v_add_f64 v[38:39], v[38:39], v[97:98]
	v_mul_f64 v[97:98], v[83:84], s[22:23]
	v_mul_f64 v[95:96], v[83:84], s[18:19]
	;; [unrolled: 1-line block ×3, first 2 shown]
	s_mov_b32 s19, 0x3fddbe06
	v_fma_f64 v[236:237], v[54:55], s[12:13], -v[138:139]
	v_mul_f64 v[60:61], v[60:61], s[18:19]
	v_add_f64 v[210:211], v[12:13], v[210:211]
	v_add_f64 v[212:213], v[12:13], v[212:213]
	v_fma_f64 v[244:245], v[54:55], s[16:17], -v[154:155]
	v_add_f64 v[214:215], v[12:13], v[214:215]
	v_mul_f64 v[79:80], v[79:80], s[18:19]
	v_fma_f64 v[154:155], v[54:55], s[16:17], v[154:155]
	v_fma_f64 v[254:255], v[54:55], s[14:15], -v[172:173]
	v_add_f64 v[100:101], v[12:13], v[100:101]
	v_add_f64 v[216:217], v[12:13], v[216:217]
	;; [unrolled: 1-line block ×5, first 2 shown]
	v_fma_f64 v[228:229], v[54:55], s[4:5], -v[118:119]
	v_fma_f64 v[138:139], v[54:55], s[12:13], v[138:139]
	v_add_f64 v[102:103], v[12:13], v[102:103]
	v_add_f64 v[104:105], v[12:13], v[104:105]
	;; [unrolled: 1-line block ×4, first 2 shown]
	v_fma_f64 v[118:119], v[54:55], s[4:5], v[118:119]
	v_fma_f64 v[172:173], v[54:55], s[14:15], v[172:173]
	v_add_f64 v[106:107], v[12:13], v[106:107]
	v_add_f64 v[112:113], v[14:15], v[112:113]
	;; [unrolled: 1-line block ×4, first 2 shown]
	s_mov_b32 s34, s22
	v_mul_f64 v[124:125], v[66:67], s[20:21]
	v_mul_f64 v[144:145], v[66:67], s[36:37]
	;; [unrolled: 1-line block ×3, first 2 shown]
	v_fma_f64 v[230:231], v[44:45], s[10:11], v[120:121]
	v_fma_f64 v[238:239], v[44:45], s[16:17], v[140:141]
	v_add_f64 v[32:33], v[32:33], v[36:37]
	v_add_f64 v[34:35], v[34:35], v[38:39]
	v_fma_f64 v[85:86], v[48:49], s[4:5], -v[97:98]
	v_mul_f64 v[36:37], v[58:59], s[30:31]
	v_mul_f64 v[58:59], v[58:59], s[18:19]
	v_fma_f64 v[226:227], v[48:49], s[16:17], -v[83:84]
	v_mul_f64 v[38:39], v[81:82], s[22:23]
	v_mul_f64 v[81:82], v[81:82], s[18:19]
	v_fma_f64 v[240:241], v[46:47], s[16:17], -v[142:143]
	v_add_f64 v[212:213], v[234:235], v[212:213]
	v_mul_f64 v[126:127], v[64:65], s[20:21]
	v_mul_f64 v[180:181], v[66:67], s[24:25]
	;; [unrolled: 1-line block ×7, first 2 shown]
	v_fma_f64 v[246:247], v[44:45], s[12:13], v[156:157]
	v_fma_f64 v[248:249], v[46:47], s[12:13], -v[158:159]
	v_mul_f64 v[66:67], v[66:67], s[18:19]
	v_mul_f64 v[64:65], v[64:65], s[18:19]
	v_add_f64 v[214:215], v[242:243], v[214:215]
	v_fma_f64 v[52:53], v[44:45], s[14:15], -v[174:175]
	v_fma_f64 v[158:159], v[46:47], s[12:13], v[158:159]
	v_add_f64 v[216:217], v[250:251], v[216:217]
	v_add_f64 v[222:223], v[254:255], v[222:223]
	;; [unrolled: 1-line block ×3, first 2 shown]
	v_fma_f64 v[232:233], v[46:47], s[10:11], -v[122:123]
	v_fma_f64 v[142:143], v[46:47], s[16:17], v[142:143]
	v_add_f64 v[102:103], v[136:137], v[102:103]
	v_add_f64 v[104:105], v[152:153], v[104:105]
	;; [unrolled: 1-line block ×3, first 2 shown]
	v_fma_f64 v[122:123], v[46:47], s[10:11], v[122:123]
	v_add_f64 v[112:113], v[172:173], v[112:113]
	v_add_f64 v[106:107], v[168:169], v[106:107]
	v_mul_f64 v[128:129], v[89:90], s[26:27]
	v_mul_f64 v[148:149], v[89:90], s[30:31]
	;; [unrolled: 1-line block ×3, first 2 shown]
	v_add_f64 v[28:29], v[28:29], v[32:33]
	v_add_f64 v[30:31], v[30:31], v[34:35]
	v_fma_f64 v[32:33], v[48:49], s[0:1], -v[95:96]
	v_fma_f64 v[34:35], v[48:49], s[0:1], v[95:96]
	v_fma_f64 v[95:96], v[48:49], s[4:5], v[97:98]
	v_fma_f64 v[97:98], v[48:49], s[10:11], -v[110:111]
	v_fma_f64 v[110:111], v[48:49], s[10:11], v[110:111]
	v_fma_f64 v[48:49], v[48:49], s[16:17], v[83:84]
	;; [unrolled: 1-line block ×3, first 2 shown]
	v_add_f64 v[85:86], v[14:15], v[85:86]
	v_fma_f64 v[116:117], v[50:51], s[4:5], -v[116:117]
	v_add_f64 v[226:227], v[14:15], v[226:227]
	v_fma_f64 v[136:137], v[42:43], s[14:15], -v[146:147]
	v_mul_f64 v[160:161], v[89:90], s[22:23]
	v_mul_f64 v[162:163], v[87:88], s[22:23]
	;; [unrolled: 1-line block ×6, first 2 shown]
	v_fma_f64 v[172:173], v[40:41], s[10:11], v[180:181]
	v_fma_f64 v[252:253], v[40:41], s[16:17], v[182:183]
	v_fma_f64 v[182:183], v[40:41], s[16:17], -v[182:183]
	v_fma_f64 v[146:147], v[42:43], s[14:15], v[146:147]
	v_fma_f64 v[170:171], v[42:43], s[10:11], -v[186:187]
	v_fma_f64 v[186:187], v[42:43], s[10:11], v[186:187]
	v_mul_f64 v[130:131], v[87:88], s[26:27]
	v_mul_f64 v[198:199], v[87:88], s[20:21]
	;; [unrolled: 1-line block ×3, first 2 shown]
	v_fma_f64 v[180:181], v[40:41], s[10:11], -v[180:181]
	v_mul_f64 v[132:133], v[93:94], s[28:29]
	v_mul_f64 v[134:135], v[91:92], s[28:29]
	;; [unrolled: 1-line block ×9, first 2 shown]
	v_add_f64 v[24:25], v[24:25], v[28:29]
	v_add_f64 v[26:27], v[26:27], v[30:31]
	v_fma_f64 v[28:29], v[54:55], s[10:11], -v[36:37]
	v_add_f64 v[32:33], v[14:15], v[32:33]
	v_add_f64 v[95:96], v[14:15], v[95:96]
	;; [unrolled: 1-line block ×4, first 2 shown]
	v_fma_f64 v[30:31], v[54:55], s[10:11], v[36:37]
	v_add_f64 v[34:35], v[14:15], v[34:35]
	v_add_f64 v[14:15], v[14:15], v[48:49]
	;; [unrolled: 1-line block ×4, first 2 shown]
	v_fma_f64 v[36:37], v[44:45], s[10:11], -v[120:121]
	v_fma_f64 v[120:121], v[44:45], s[16:17], -v[140:141]
	;; [unrolled: 1-line block ×3, first 2 shown]
	v_fma_f64 v[156:157], v[44:45], s[4:5], v[38:39]
	v_fma_f64 v[38:39], v[44:45], s[4:5], -v[38:39]
	v_fma_f64 v[48:49], v[44:45], s[14:15], v[174:175]
	v_add_f64 v[100:101], v[116:117], v[100:101]
	v_fma_f64 v[174:175], v[46:47], s[4:5], -v[176:177]
	v_fma_f64 v[176:177], v[46:47], s[4:5], v[176:177]
	v_fma_f64 v[210:211], v[40:41], s[12:13], v[124:125]
	;; [unrolled: 1-line block ×3, first 2 shown]
	v_fma_f64 v[124:125], v[40:41], s[12:13], -v[124:125]
	v_fma_f64 v[144:145], v[40:41], s[14:15], -v[144:145]
	v_mul_f64 v[93:94], v[93:94], s[18:19]
	v_fma_f64 v[234:235], v[70:71], s[14:15], v[128:129]
	v_fma_f64 v[152:153], v[68:69], s[10:11], -v[150:151]
	v_fma_f64 v[250:251], v[68:69], s[4:5], -v[162:163]
	;; [unrolled: 1-line block ×3, first 2 shown]
	v_fma_f64 v[242:243], v[62:63], s[16:17], v[132:133]
	v_fma_f64 v[254:255], v[62:63], s[14:15], v[164:165]
	v_fma_f64 v[168:169], v[56:57], s[14:15], -v[166:167]
	s_load_b64 s[2:3], s[2:3], 0x0
	v_add_f64 v[20:21], v[20:21], v[24:25]
	v_add_f64 v[22:23], v[22:23], v[26:27]
	v_fma_f64 v[24:25], v[46:47], s[14:15], -v[178:179]
	v_fma_f64 v[26:27], v[46:47], s[14:15], v[178:179]
	v_fma_f64 v[178:179], v[50:51], s[0:1], v[60:61]
	v_fma_f64 v[50:51], v[50:51], s[0:1], -v[60:61]
	v_fma_f64 v[60:61], v[54:55], s[0:1], -v[58:59]
	v_fma_f64 v[54:55], v[54:55], s[0:1], v[58:59]
	v_add_f64 v[97:98], v[244:245], v[97:98]
	v_fma_f64 v[58:59], v[44:45], s[0:1], v[81:82]
	v_fma_f64 v[44:45], v[44:45], s[0:1], -v[81:82]
	v_fma_f64 v[81:82], v[46:47], s[0:1], -v[79:80]
	v_add_f64 v[110:111], v[154:155], v[110:111]
	v_add_f64 v[32:33], v[228:229], v[32:33]
	;; [unrolled: 1-line block ×4, first 2 shown]
	v_fma_f64 v[46:47], v[46:47], s[0:1], v[79:80]
	v_add_f64 v[34:35], v[118:119], v[34:35]
	v_add_f64 v[30:31], v[30:31], v[114:115]
	;; [unrolled: 1-line block ×4, first 2 shown]
	v_fma_f64 v[228:229], v[42:43], s[12:13], -v[126:127]
	v_fma_f64 v[224:225], v[40:41], s[4:5], v[184:185]
	v_fma_f64 v[126:127], v[42:43], s[12:13], v[126:127]
	v_add_f64 v[36:37], v[36:37], v[100:101]
	v_add_f64 v[38:39], v[38:39], v[108:109]
	v_fma_f64 v[184:185], v[40:41], s[4:5], -v[184:185]
	v_mul_f64 v[79:80], v[91:92], s[34:35]
	v_mul_f64 v[91:92], v[91:92], s[18:19]
	v_fma_f64 v[138:139], v[70:71], s[10:11], v[148:149]
	v_fma_f64 v[154:155], v[70:71], s[4:5], v[160:161]
	v_fma_f64 v[118:119], v[70:71], s[14:15], -v[128:129]
	v_fma_f64 v[128:129], v[70:71], s[10:11], -v[148:149]
	;; [unrolled: 1-line block ×3, first 2 shown]
	v_fma_f64 v[160:161], v[70:71], s[16:17], v[192:193]
	v_fma_f64 v[108:109], v[68:69], s[12:13], -v[198:199]
	v_fma_f64 v[244:245], v[56:57], s[16:17], -v[134:135]
	v_add_f64 v[16:17], v[16:17], v[20:21]
	v_add_f64 v[18:19], v[18:19], v[22:23]
	v_fma_f64 v[20:21], v[42:43], s[4:5], -v[190:191]
	v_fma_f64 v[22:23], v[42:43], s[4:5], v[190:191]
	v_add_f64 v[178:179], v[178:179], v[220:221]
	v_add_f64 v[12:13], v[50:51], v[12:13]
	;; [unrolled: 1-line block ×6, first 2 shown]
	v_fma_f64 v[226:227], v[40:41], s[0:1], v[66:67]
	v_fma_f64 v[50:51], v[42:43], s[0:1], -v[64:65]
	v_add_f64 v[97:98], v[248:249], v[97:98]
	v_fma_f64 v[220:221], v[42:43], s[16:17], -v[188:189]
	v_fma_f64 v[188:189], v[42:43], s[16:17], v[188:189]
	v_fma_f64 v[42:43], v[42:43], s[0:1], v[64:65]
	v_add_f64 v[100:101], v[158:159], v[110:111]
	v_add_f64 v[58:59], v[58:59], v[216:217]
	;; [unrolled: 1-line block ×4, first 2 shown]
	v_fma_f64 v[40:41], v[40:41], s[0:1], -v[66:67]
	v_add_f64 v[64:65], v[120:121], v[102:103]
	v_add_f64 v[66:67], v[142:143], v[95:96]
	;; [unrolled: 1-line block ×8, first 2 shown]
	v_fma_f64 v[190:191], v[70:71], s[16:17], -v[192:193]
	v_fma_f64 v[104:105], v[70:71], s[12:13], v[194:195]
	v_fma_f64 v[112:113], v[70:71], s[0:1], v[89:90]
	v_add_f64 v[38:39], v[182:183], v[38:39]
	v_add_f64 v[36:37], v[124:125], v[36:37]
	v_fma_f64 v[106:107], v[68:69], s[16:17], v[196:197]
	v_fma_f64 v[110:111], v[68:69], s[12:13], v[198:199]
	v_fma_f64 v[120:121], v[62:63], s[12:13], -v[202:203]
	v_fma_f64 v[124:125], v[62:63], s[10:11], -v[204:205]
	v_add_f64 v[8:9], v[8:9], v[16:17]
	v_add_f64 v[10:11], v[10:11], v[18:19]
	v_fma_f64 v[18:19], v[68:69], s[4:5], v[162:163]
	v_fma_f64 v[16:17], v[68:69], s[10:11], v[150:151]
	v_add_f64 v[48:49], v[48:49], v[178:179]
	v_add_f64 v[12:13], v[52:53], v[12:13]
	v_add_f64 v[24:25], v[24:25], v[60:61]
	v_add_f64 v[14:15], v[26:27], v[14:15]
	v_add_f64 v[26:27], v[122:123], v[34:35]
	v_add_f64 v[34:35], v[210:211], v[54:55]
	v_add_f64 v[54:55], v[116:117], v[83:84]
	v_add_f64 v[83:84], v[136:137], v[85:86]
	v_add_f64 v[85:86], v[226:227], v[114:115]
	v_add_f64 v[50:51], v[50:51], v[97:98]
	v_fma_f64 v[60:61], v[70:71], s[12:13], -v[194:195]
	v_fma_f64 v[97:98], v[68:69], s[16:17], -v[196:197]
	v_fma_f64 v[70:71], v[70:71], s[0:1], -v[89:90]
	v_add_f64 v[42:43], v[42:43], v[100:101]
	v_add_f64 v[58:59], v[172:173], v[58:59]
	;; [unrolled: 1-line block ×4, first 2 shown]
	v_fma_f64 v[89:90], v[68:69], s[0:1], -v[87:88]
	v_fma_f64 v[52:53], v[68:69], s[14:15], v[130:131]
	v_add_f64 v[40:41], v[40:41], v[95:96]
	v_add_f64 v[95:96], v[252:253], v[102:103]
	;; [unrolled: 1-line block ×4, first 2 shown]
	v_fma_f64 v[68:69], v[68:69], s[0:1], v[87:88]
	v_add_f64 v[44:45], v[180:181], v[44:45]
	v_add_f64 v[64:65], v[144:145], v[64:65]
	;; [unrolled: 1-line block ×3, first 2 shown]
	v_fma_f64 v[100:101], v[62:63], s[0:1], v[93:94]
	v_fma_f64 v[87:88], v[62:63], s[14:15], -v[164:165]
	v_fma_f64 v[102:103], v[62:63], s[4:5], v[200:201]
	v_fma_f64 v[114:115], v[62:63], s[4:5], -v[200:201]
	v_fma_f64 v[116:117], v[62:63], s[12:13], v[202:203]
	v_fma_f64 v[122:123], v[62:63], s[10:11], v[204:205]
	v_add_f64 v[36:37], v[118:119], v[36:37]
	v_add_f64 v[4:5], v[4:5], v[8:9]
	;; [unrolled: 1-line block ×9, first 2 shown]
	v_fma_f64 v[24:25], v[56:57], s[0:1], -v[91:92]
	v_add_f64 v[30:31], v[234:235], v[34:35]
	v_add_f64 v[34:35], v[138:139], v[54:55]
	;; [unrolled: 1-line block ×5, first 2 shown]
	v_fma_f64 v[85:86], v[62:63], s[16:17], -v[132:133]
	v_fma_f64 v[62:63], v[62:63], s[0:1], -v[93:94]
	v_add_f64 v[93:94], v[18:19], v[42:43]
	v_add_f64 v[42:43], v[160:161], v[58:59]
	;; [unrolled: 1-line block ×5, first 2 shown]
	v_fma_f64 v[97:98], v[56:57], s[12:13], -v[206:207]
	v_add_f64 v[81:82], v[112:113], v[95:96]
	v_add_f64 v[89:90], v[89:90], v[28:29]
	;; [unrolled: 1-line block ×5, first 2 shown]
	v_fma_f64 v[91:92], v[56:57], s[0:1], v[91:92]
	v_add_f64 v[64:65], v[128:129], v[64:65]
	v_add_f64 v[66:67], v[16:17], v[66:67]
	;; [unrolled: 1-line block ×5, first 2 shown]
	v_fma_f64 v[48:49], v[56:57], s[4:5], -v[79:80]
	v_add_f64 v[95:96], v[108:109], v[20:21]
	v_fma_f64 v[104:105], v[56:57], s[10:11], -v[208:209]
	v_add_f64 v[60:61], v[60:61], v[12:13]
	v_add_f64 v[106:107], v[110:111], v[14:15]
	v_fma_f64 v[108:109], v[56:57], s[10:11], v[208:209]
	v_add_f64 v[26:27], v[68:69], v[26:27]
	v_fma_f64 v[68:69], v[56:57], s[12:13], v[206:207]
	v_fma_f64 v[79:80], v[56:57], s[4:5], v[79:80]
	;; [unrolled: 1-line block ×4, first 2 shown]
	v_add_f64 v[52:53], v[52:53], v[22:23]
	v_add_f64 v[12:13], v[100:101], v[34:35]
	;; [unrolled: 1-line block ×25, first 2 shown]
	v_and_b32_e32 v52, 1, v99
	s_delay_alu instid0(VALU_DEP_1) | instskip(NEXT) | instid1(VALU_DEP_1)
	v_cmp_eq_u32_e64 s0, 1, v52
	v_cndmask_b32_e64 v81, 0, 0x3f6, s0
	v_cmp_gt_u32_e64 s0, 13, v78
	s_delay_alu instid0(VALU_DEP_2) | instskip(NEXT) | instid1(VALU_DEP_1)
	v_lshl_add_u32 v52, v81, 4, 0
	v_mad_u32_u24 v53, 0xd0, v78, v52
	v_lshl_add_u32 v79, v78, 4, v52
	ds_store_b128 v53, v[12:15] offset:32
	ds_store_b128 v53, v[16:19] offset:48
	;; [unrolled: 1-line block ×6, first 2 shown]
	ds_store_b128 v53, v[4:7]
	ds_store_b128 v53, v[8:11] offset:16
	ds_store_b128 v53, v[48:51] offset:128
	;; [unrolled: 1-line block ×6, first 2 shown]
	v_mad_i32_i24 v80, 0xffffff40, v78, v53
	s_waitcnt lgkmcnt(0)
	s_barrier
	buffer_gl0_inv
	ds_load_b128 v[28:31], v79
	ds_load_b128 v[24:27], v80 offset:1248
	ds_load_b128 v[40:43], v80 offset:2704
	ds_load_b128 v[32:35], v80 offset:3952
	ds_load_b128 v[48:51], v80 offset:5408
	ds_load_b128 v[36:39], v80 offset:6656
	ds_load_b128 v[64:67], v80 offset:8112
	ds_load_b128 v[56:59], v80 offset:9360
	ds_load_b128 v[52:55], v80 offset:10816
	ds_load_b128 v[44:47], v80 offset:12064
	ds_load_b128 v[68:71], v80 offset:13520
	ds_load_b128 v[60:63], v80 offset:14768
                                        ; implicit-def: $vgpr22_vgpr23
                                        ; implicit-def: $vgpr18_vgpr19
                                        ; implicit-def: $vgpr14_vgpr15
                                        ; implicit-def: $vgpr10_vgpr11
                                        ; implicit-def: $vgpr6_vgpr7
	s_and_saveexec_b32 s1, s0
	s_cbranch_execz .LBB0_15
; %bb.14:
	ds_load_b128 v[0:3], v80 offset:2496
	ds_load_b128 v[4:7], v80 offset:5200
	;; [unrolled: 1-line block ×6, first 2 shown]
.LBB0_15:
	s_or_b32 exec_lo, exec_lo, s1
	v_and_b32_e32 v82, 0xff, v78
	v_add_nc_u16 v83, v78, 0x4e
	s_mov_b32 s4, 0xe8584caa
	s_mov_b32 s5, 0xbfebb67a
	;; [unrolled: 1-line block ×3, first 2 shown]
	v_mul_lo_u16 v82, 0x4f, v82
	v_and_b32_e32 v84, 0xff, v83
	s_mov_b32 s10, s4
	s_delay_alu instid0(VALU_DEP_2) | instskip(NEXT) | instid1(VALU_DEP_2)
	v_lshrrev_b16 v132, 10, v82
	v_mul_lo_u16 v82, 0x4f, v84
	s_delay_alu instid0(VALU_DEP_2) | instskip(NEXT) | instid1(VALU_DEP_2)
	v_mul_lo_u16 v84, v132, 13
	v_lshrrev_b16 v133, 10, v82
	s_delay_alu instid0(VALU_DEP_2) | instskip(NEXT) | instid1(VALU_DEP_2)
	v_sub_nc_u16 v82, v78, v84
	v_mul_lo_u16 v84, v133, 13
	s_delay_alu instid0(VALU_DEP_2) | instskip(NEXT) | instid1(VALU_DEP_2)
	v_and_b32_e32 v134, 0xff, v82
	v_sub_nc_u16 v82, v83, v84
	s_delay_alu instid0(VALU_DEP_2) | instskip(NEXT) | instid1(VALU_DEP_2)
	v_mul_u32_u24_e32 v83, 5, v134
	v_and_b32_e32 v135, 0xff, v82
	s_delay_alu instid0(VALU_DEP_2) | instskip(NEXT) | instid1(VALU_DEP_2)
	v_lshlrev_b32_e32 v110, 4, v83
	v_mul_u32_u24_e32 v90, 5, v135
	s_clause 0x1
	global_load_b128 v[82:85], v110, s[8:9] offset:32
	global_load_b128 v[86:89], v110, s[8:9] offset:64
	v_lshlrev_b32_e32 v118, 4, v90
	s_clause 0x7
	global_load_b128 v[90:93], v118, s[8:9] offset:32
	global_load_b128 v[94:97], v118, s[8:9] offset:64
	global_load_b128 v[98:101], v110, s[8:9]
	global_load_b128 v[102:105], v118, s[8:9]
	global_load_b128 v[106:109], v110, s[8:9] offset:16
	global_load_b128 v[110:113], v110, s[8:9] offset:48
	global_load_b128 v[114:117], v118, s[8:9] offset:16
	global_load_b128 v[118:121], v118, s[8:9] offset:48
	s_waitcnt vmcnt(0) lgkmcnt(0)
	s_barrier
	buffer_gl0_inv
	v_mul_f64 v[126:127], v[56:57], v[92:93]
	v_mul_f64 v[122:123], v[64:65], v[84:85]
	;; [unrolled: 1-line block ×10, first 2 shown]
	v_fma_f64 v[58:59], v[58:59], v[90:91], -v[126:127]
	v_fma_f64 v[66:67], v[66:67], v[82:83], -v[122:123]
	;; [unrolled: 1-line block ×3, first 2 shown]
	v_mul_f64 v[122:123], v[32:33], v[104:105]
	v_fma_f64 v[62:63], v[62:63], v[94:95], -v[128:129]
	v_mul_f64 v[124:125], v[50:51], v[108:109]
	v_mul_f64 v[108:109], v[48:49], v[108:109]
	v_mul_f64 v[126:127], v[54:55], v[112:113]
	v_mul_f64 v[112:113], v[52:53], v[112:113]
	v_fma_f64 v[64:65], v[64:65], v[82:83], v[84:85]
	v_fma_f64 v[68:69], v[68:69], v[86:87], v[88:89]
	v_fma_f64 v[42:43], v[42:43], v[98:99], -v[130:131]
	v_mul_f64 v[104:105], v[34:35], v[104:105]
	v_mul_f64 v[84:85], v[38:39], v[116:117]
	;; [unrolled: 1-line block ×5, first 2 shown]
	v_fma_f64 v[56:57], v[56:57], v[90:91], v[92:93]
	v_fma_f64 v[60:61], v[60:61], v[94:95], v[96:97]
	;; [unrolled: 1-line block ×3, first 2 shown]
	v_add_f64 v[82:83], v[66:67], v[70:71]
	v_fma_f64 v[34:35], v[34:35], v[102:103], -v[122:123]
	v_add_f64 v[90:91], v[58:59], v[62:63]
	v_fma_f64 v[48:49], v[48:49], v[106:107], v[124:125]
	v_fma_f64 v[50:51], v[50:51], v[106:107], -v[108:109]
	v_fma_f64 v[52:53], v[52:53], v[110:111], v[126:127]
	v_fma_f64 v[54:55], v[54:55], v[110:111], -v[112:113]
	v_add_f64 v[98:99], v[66:67], -v[70:71]
	v_add_f64 v[92:93], v[64:65], v[68:69]
	v_add_f64 v[94:95], v[64:65], -v[68:69]
	v_fma_f64 v[32:33], v[32:33], v[102:103], v[104:105]
	v_fma_f64 v[36:37], v[36:37], v[114:115], v[84:85]
	v_fma_f64 v[38:39], v[38:39], v[114:115], -v[86:87]
	v_fma_f64 v[44:45], v[44:45], v[118:119], v[88:89]
	v_fma_f64 v[46:47], v[46:47], v[118:119], -v[116:117]
	v_add_f64 v[104:105], v[58:59], -v[62:63]
	v_add_f64 v[84:85], v[56:57], v[60:61]
	v_add_f64 v[86:87], v[56:57], -v[60:61]
	v_fma_f64 v[82:83], v[82:83], -0.5, v[42:43]
	v_add_f64 v[42:43], v[42:43], v[66:67]
	v_fma_f64 v[88:89], v[90:91], -0.5, v[34:35]
	v_add_f64 v[34:35], v[34:35], v[58:59]
	v_add_f64 v[90:91], v[48:49], v[52:53]
	;; [unrolled: 1-line block ×3, first 2 shown]
	v_add_f64 v[108:109], v[50:51], -v[54:55]
	v_fma_f64 v[92:93], v[92:93], -0.5, v[40:41]
	v_add_f64 v[50:51], v[30:31], v[50:51]
	v_add_f64 v[40:41], v[40:41], v[64:65]
	v_add_f64 v[64:65], v[24:25], v[36:37]
	v_add_f64 v[102:103], v[38:39], v[46:47]
	v_add_f64 v[66:67], v[38:39], -v[46:47]
	v_fma_f64 v[84:85], v[84:85], -0.5, v[32:33]
	v_add_f64 v[38:39], v[26:27], v[38:39]
	v_add_f64 v[32:33], v[32:33], v[56:57]
	v_fma_f64 v[100:101], v[94:95], s[10:11], v[82:83]
	v_fma_f64 v[82:83], v[94:95], s[4:5], v[82:83]
	v_add_f64 v[94:95], v[36:37], v[44:45]
	v_fma_f64 v[106:107], v[86:87], s[10:11], v[88:89]
	v_fma_f64 v[86:87], v[86:87], s[4:5], v[88:89]
	v_add_f64 v[88:89], v[28:29], v[48:49]
	v_add_f64 v[48:49], v[48:49], -v[52:53]
	v_fma_f64 v[28:29], v[90:91], -0.5, v[28:29]
	v_fma_f64 v[30:31], v[96:97], -0.5, v[30:31]
	v_fma_f64 v[56:57], v[98:99], s[4:5], v[92:93]
	v_fma_f64 v[58:59], v[98:99], s[10:11], v[92:93]
	v_add_f64 v[36:37], v[36:37], -v[44:45]
	v_add_f64 v[50:51], v[50:51], v[54:55]
	v_add_f64 v[40:41], v[40:41], v[68:69]
	v_fma_f64 v[26:27], v[102:103], -0.5, v[26:27]
	v_add_f64 v[42:43], v[42:43], v[70:71]
	v_add_f64 v[44:45], v[64:65], v[44:45]
	;; [unrolled: 1-line block ×5, first 2 shown]
	v_mul_f64 v[90:91], v[100:101], s[4:5]
	v_mul_f64 v[96:97], v[100:101], 0.5
	v_mul_f64 v[92:93], v[82:83], s[4:5]
	v_mul_f64 v[82:83], v[82:83], -0.5
	v_fma_f64 v[24:25], v[94:95], -0.5, v[24:25]
	v_fma_f64 v[94:95], v[104:105], s[4:5], v[84:85]
	v_mul_f64 v[98:99], v[106:107], s[4:5]
	v_mul_f64 v[102:103], v[106:107], 0.5
	v_fma_f64 v[84:85], v[104:105], s[10:11], v[84:85]
	v_mul_f64 v[100:101], v[86:87], s[4:5]
	v_mul_f64 v[86:87], v[86:87], -0.5
	v_add_f64 v[52:53], v[88:89], v[52:53]
	v_fma_f64 v[60:61], v[108:109], s[4:5], v[28:29]
	v_fma_f64 v[64:65], v[48:49], s[10:11], v[30:31]
	;; [unrolled: 1-line block ×4, first 2 shown]
	v_add_f64 v[31:32], v[50:51], -v[42:43]
	v_add_f64 v[33:34], v[44:45], v[38:39]
	v_fma_f64 v[70:71], v[56:57], 0.5, v[90:91]
	v_fma_f64 v[56:57], v[56:57], s[10:11], v[96:97]
	v_fma_f64 v[88:89], v[58:59], -0.5, v[92:93]
	v_fma_f64 v[58:59], v[58:59], s[10:11], v[82:83]
	v_fma_f64 v[82:83], v[66:67], s[4:5], v[24:25]
	;; [unrolled: 1-line block ×4, first 2 shown]
	v_fma_f64 v[66:67], v[94:95], 0.5, v[98:99]
	v_fma_f64 v[94:95], v[94:95], s[10:11], v[102:103]
	v_fma_f64 v[96:97], v[36:37], s[4:5], v[26:27]
	v_fma_f64 v[98:99], v[84:85], -0.5, v[100:101]
	v_fma_f64 v[84:85], v[84:85], s[10:11], v[86:87]
	v_add_f64 v[25:26], v[52:53], v[40:41]
	v_add_f64 v[27:28], v[50:51], v[42:43]
	v_add_f64 v[29:30], v[52:53], -v[40:41]
	v_add_f64 v[37:38], v[44:45], -v[38:39]
	v_add_f64 v[35:36], v[46:47], v[54:55]
	v_add_f64 v[39:40], v[46:47], -v[54:55]
	v_lshlrev_b32_e32 v24, 4, v81
	v_lshlrev_b32_e32 v81, 4, v135
	v_add_f64 v[41:42], v[60:61], v[70:71]
	v_add_f64 v[43:44], v[64:65], v[56:57]
	;; [unrolled: 1-line block ×4, first 2 shown]
	v_add_f64 v[49:50], v[60:61], -v[70:71]
	v_add_f64 v[51:52], v[64:65], -v[56:57]
	;; [unrolled: 1-line block ×4, first 2 shown]
	v_add_f64 v[57:58], v[82:83], v[66:67]
	v_add_f64 v[59:60], v[92:93], v[94:95]
	;; [unrolled: 1-line block ×4, first 2 shown]
	v_add_f64 v[65:66], v[82:83], -v[66:67]
	v_add_f64 v[67:68], v[92:93], -v[94:95]
	v_add_f64 v[82:83], v[90:91], -v[98:99]
	v_add_f64 v[84:85], v[96:97], -v[84:85]
	v_and_b32_e32 v69, 0xffff, v132
	v_and_b32_e32 v70, 0xffff, v133
	v_lshlrev_b32_e32 v71, 4, v134
	s_delay_alu instid0(VALU_DEP_3) | instskip(NEXT) | instid1(VALU_DEP_3)
	v_mad_u32_u24 v69, 0x4e0, v69, 0
	v_mad_u32_u24 v70, 0x4e0, v70, 0
	s_delay_alu instid0(VALU_DEP_2) | instskip(NEXT) | instid1(VALU_DEP_2)
	v_add3_u32 v69, v69, v71, v24
	v_add3_u32 v70, v70, v81, v24
	ds_store_b128 v69, v[25:28]
	ds_store_b128 v69, v[41:44] offset:208
	ds_store_b128 v69, v[45:48] offset:416
	;; [unrolled: 1-line block ×5, first 2 shown]
	ds_store_b128 v70, v[33:36]
	ds_store_b128 v70, v[57:60] offset:208
	ds_store_b128 v70, v[61:64] offset:416
	;; [unrolled: 1-line block ×5, first 2 shown]
	s_and_saveexec_b32 s1, s0
	s_cbranch_execz .LBB0_17
; %bb.16:
	v_add_nc_u16 v25, v78, 0x9c
	s_delay_alu instid0(VALU_DEP_1) | instskip(NEXT) | instid1(VALU_DEP_1)
	v_and_b32_e32 v26, 0xff, v25
	v_mul_lo_u16 v26, 0x4f, v26
	s_delay_alu instid0(VALU_DEP_1) | instskip(NEXT) | instid1(VALU_DEP_1)
	v_lshrrev_b16 v26, 10, v26
	v_mul_lo_u16 v26, v26, 13
	s_delay_alu instid0(VALU_DEP_1) | instskip(NEXT) | instid1(VALU_DEP_1)
	v_sub_nc_u16 v25, v25, v26
	v_and_b32_e32 v51, 0xff, v25
	s_delay_alu instid0(VALU_DEP_1) | instskip(NEXT) | instid1(VALU_DEP_1)
	v_mul_u32_u24_e32 v25, 5, v51
	v_lshlrev_b32_e32 v41, 4, v25
	s_clause 0x4
	global_load_b128 v[25:28], v41, s[8:9] offset:32
	global_load_b128 v[29:32], v41, s[8:9] offset:64
	global_load_b128 v[33:36], v41, s[8:9]
	global_load_b128 v[37:40], v41, s[8:9] offset:16
	global_load_b128 v[41:44], v41, s[8:9] offset:48
	s_waitcnt vmcnt(4)
	v_mul_f64 v[45:46], v[12:13], v[27:28]
	s_waitcnt vmcnt(3)
	v_mul_f64 v[47:48], v[20:21], v[31:32]
	v_mul_f64 v[27:28], v[14:15], v[27:28]
	v_mul_f64 v[31:32], v[22:23], v[31:32]
	s_waitcnt vmcnt(2)
	v_mul_f64 v[49:50], v[4:5], v[35:36]
	v_mul_f64 v[35:36], v[6:7], v[35:36]
	v_fma_f64 v[14:15], v[14:15], v[25:26], -v[45:46]
	v_fma_f64 v[22:23], v[22:23], v[29:30], -v[47:48]
	s_waitcnt vmcnt(1)
	v_mul_f64 v[45:46], v[8:9], v[39:40]
	s_waitcnt vmcnt(0)
	v_mul_f64 v[47:48], v[16:17], v[43:44]
	v_mul_f64 v[39:40], v[10:11], v[39:40]
	;; [unrolled: 1-line block ×3, first 2 shown]
	v_fma_f64 v[12:13], v[12:13], v[25:26], v[27:28]
	v_fma_f64 v[20:21], v[20:21], v[29:30], v[31:32]
	v_fma_f64 v[6:7], v[6:7], v[33:34], -v[49:50]
	v_fma_f64 v[4:5], v[4:5], v[33:34], v[35:36]
	v_add_f64 v[25:26], v[14:15], v[22:23]
	v_fma_f64 v[10:11], v[10:11], v[37:38], -v[45:46]
	v_fma_f64 v[18:19], v[18:19], v[41:42], -v[47:48]
	v_fma_f64 v[8:9], v[8:9], v[37:38], v[39:40]
	v_fma_f64 v[16:17], v[16:17], v[41:42], v[43:44]
	v_add_f64 v[33:34], v[14:15], -v[22:23]
	v_add_f64 v[27:28], v[12:13], v[20:21]
	v_add_f64 v[29:30], v[12:13], -v[20:21]
	v_fma_f64 v[25:26], v[25:26], -0.5, v[6:7]
	v_add_f64 v[39:40], v[2:3], v[10:11]
	v_add_f64 v[31:32], v[10:11], v[18:19]
	;; [unrolled: 1-line block ×4, first 2 shown]
	v_add_f64 v[10:11], v[10:11], -v[18:19]
	v_fma_f64 v[27:28], v[27:28], -0.5, v[4:5]
	v_add_f64 v[4:5], v[4:5], v[12:13]
	v_fma_f64 v[37:38], v[29:30], s[4:5], v[25:26]
	v_fma_f64 v[25:26], v[29:30], s[10:11], v[25:26]
	v_add_f64 v[29:30], v[8:9], -v[16:17]
	v_add_f64 v[8:9], v[0:1], v[8:9]
	v_fma_f64 v[2:3], v[31:32], -0.5, v[2:3]
	v_fma_f64 v[0:1], v[35:36], -0.5, v[0:1]
	v_fma_f64 v[12:13], v[33:34], s[10:11], v[27:28]
	v_fma_f64 v[27:28], v[33:34], s[4:5], v[27:28]
	v_add_f64 v[18:19], v[39:40], v[18:19]
	v_add_f64 v[6:7], v[6:7], v[22:23]
	;; [unrolled: 1-line block ×3, first 2 shown]
	v_mul_f64 v[14:15], v[37:38], -0.5
	v_mul_f64 v[31:32], v[25:26], 0.5
	v_mul_f64 v[25:26], v[25:26], s[4:5]
	v_mul_f64 v[33:34], v[37:38], s[4:5]
	v_add_f64 v[8:9], v[8:9], v[16:17]
	v_fma_f64 v[16:17], v[29:30], s[4:5], v[2:3]
	v_fma_f64 v[20:21], v[29:30], s[10:11], v[2:3]
	;; [unrolled: 1-line block ×4, first 2 shown]
	v_add_f64 v[2:3], v[18:19], -v[6:7]
	v_add_f64 v[6:7], v[18:19], v[6:7]
	v_fma_f64 v[14:15], v[12:13], s[10:11], v[14:15]
	v_fma_f64 v[22:23], v[27:28], s[10:11], v[31:32]
	v_fma_f64 v[25:26], v[27:28], 0.5, v[25:26]
	v_fma_f64 v[27:28], v[12:13], -0.5, v[33:34]
	v_add_f64 v[0:1], v[8:9], -v[4:5]
	v_add_f64 v[4:5], v[8:9], v[4:5]
	v_add_f64 v[10:11], v[16:17], -v[14:15]
	v_add_f64 v[14:15], v[16:17], v[14:15]
	v_add_f64 v[18:19], v[20:21], v[22:23]
	;; [unrolled: 1-line block ×4, first 2 shown]
	v_add_f64 v[22:23], v[20:21], -v[22:23]
	v_add_f64 v[20:21], v[35:36], -v[25:26]
	;; [unrolled: 1-line block ×3, first 2 shown]
	v_lshlrev_b32_e32 v25, 4, v51
	s_delay_alu instid0(VALU_DEP_1)
	v_add3_u32 v24, 0, v25, v24
	ds_store_b128 v24, v[4:7] offset:14976
	ds_store_b128 v24, v[16:19] offset:15184
	;; [unrolled: 1-line block ×6, first 2 shown]
.LBB0_17:
	s_or_b32 exec_lo, exec_lo, s1
	s_waitcnt lgkmcnt(0)
	s_barrier
	buffer_gl0_inv
	s_and_saveexec_b32 s0, vcc_lo
	s_cbranch_execz .LBB0_19
; %bb.18:
	v_mul_u32_u24_e32 v0, 12, v78
	s_mov_b32 s31, 0x3fddbe06
	s_mov_b32 s30, 0x4267c47c
	;; [unrolled: 1-line block ×4, first 2 shown]
	v_lshlrev_b32_e32 v0, 4, v0
	s_mov_b32 s20, 0x42a4c3d2
	s_mov_b32 s18, 0x24c2f84
	s_mov_b32 s24, 0x4bc48dbf
	s_mov_b32 s17, 0x3fefc445
	s_clause 0xb
	global_load_b128 v[14:17], v0, s[8:9] offset:1104
	global_load_b128 v[4:7], v0, s[8:9] offset:1088
	;; [unrolled: 1-line block ×12, first 2 shown]
	ds_load_b128 v[28:31], v80 offset:6240
	ds_load_b128 v[40:43], v80 offset:4992
	;; [unrolled: 1-line block ×12, first 2 shown]
	ds_load_b128 v[0:3], v79
	s_mov_b32 s23, 0xbfedeba7
	s_mov_b32 s21, 0x3fea55e2
	;; [unrolled: 1-line block ×24, first 2 shown]
	v_mul_lo_u32 v252, s3, v74
	v_mul_lo_u32 v253, s2, v75
	v_lshlrev_b64 v[72:73], 4, v[72:73]
	s_waitcnt vmcnt(11) lgkmcnt(12)
	v_mul_f64 v[12:13], v[16:17], v[30:31]
	s_waitcnt vmcnt(10) lgkmcnt(11)
	v_mul_f64 v[18:19], v[6:7], v[42:43]
	;; [unrolled: 2-line block ×3, first 2 shown]
	v_mul_f64 v[10:11], v[68:69], v[10:11]
	v_mul_f64 v[6:7], v[40:41], v[6:7]
	s_waitcnt vmcnt(8) lgkmcnt(9)
	v_mul_f64 v[50:51], v[26:27], v[83:84]
	s_waitcnt vmcnt(7) lgkmcnt(8)
	;; [unrolled: 2-line block ×3, first 2 shown]
	v_mul_f64 v[121:122], v[48:49], v[99:100]
	v_mul_f64 v[125:126], v[97:98], v[48:49]
	;; [unrolled: 1-line block ×7, first 2 shown]
	s_waitcnt vmcnt(2) lgkmcnt(3)
	v_mul_f64 v[127:128], v[58:59], v[107:108]
	v_mul_f64 v[58:59], v[105:106], v[58:59]
	;; [unrolled: 1-line block ×4, first 2 shown]
	s_waitcnt vmcnt(1) lgkmcnt(2)
	v_mul_f64 v[131:132], v[62:63], v[111:112]
	v_mul_f64 v[62:63], v[109:110], v[62:63]
	;; [unrolled: 1-line block ×4, first 2 shown]
	s_waitcnt vmcnt(0) lgkmcnt(1)
	v_mul_f64 v[133:134], v[66:67], v[115:116]
	v_mul_f64 v[66:67], v[113:114], v[66:67]
	v_fma_f64 v[28:29], v[14:15], v[28:29], v[12:13]
	v_fma_f64 v[40:41], v[4:5], v[40:41], v[18:19]
	;; [unrolled: 1-line block ×3, first 2 shown]
	v_fma_f64 v[18:19], v[8:9], v[70:71], -v[10:11]
	v_fma_f64 v[42:43], v[4:5], v[42:43], -v[6:7]
	v_fma_f64 v[44:45], v[24:25], v[81:82], v[50:51]
	v_fma_f64 v[12:13], v[32:33], v[85:86], v[78:79]
	;; [unrolled: 1-line block ×3, first 2 shown]
	v_fma_f64 v[68:69], v[46:47], v[99:100], -v[125:126]
	v_fma_f64 v[48:49], v[20:21], v[89:90], v[117:118]
	v_fma_f64 v[8:9], v[36:37], v[93:94], v[119:120]
	v_fma_f64 v[50:51], v[20:21], v[91:92], -v[22:23]
	v_fma_f64 v[10:11], v[36:37], v[95:96], -v[38:39]
	;; [unrolled: 1-line block ×3, first 2 shown]
	v_fma_f64 v[20:21], v[56:57], v[105:106], v[127:128]
	v_fma_f64 v[22:23], v[56:57], v[107:108], -v[58:59]
	v_fma_f64 v[46:47], v[24:25], v[83:84], -v[26:27]
	;; [unrolled: 1-line block ×3, first 2 shown]
	v_fma_f64 v[32:33], v[60:61], v[109:110], v[131:132]
	v_fma_f64 v[38:39], v[60:61], v[111:112], -v[62:63]
	v_fma_f64 v[4:5], v[52:53], v[101:102], v[123:124]
	v_fma_f64 v[6:7], v[52:53], v[103:104], -v[54:55]
	;; [unrolled: 2-line block ×3, first 2 shown]
	v_add_f64 v[58:59], v[40:41], -v[16:17]
	v_add_f64 v[92:93], v[40:41], v[16:17]
	v_add_f64 v[64:65], v[42:43], -v[18:19]
	v_add_f64 v[84:85], v[42:43], v[18:19]
	v_add_f64 v[60:61], v[44:45], -v[12:13]
	s_waitcnt lgkmcnt(0)
	v_add_f64 v[80:81], v[70:71], v[0:1]
	v_add_f64 v[78:79], v[2:3], v[68:69]
	;; [unrolled: 1-line block ×3, first 2 shown]
	v_add_f64 v[62:63], v[48:49], -v[8:9]
	v_add_f64 v[96:97], v[48:49], v[8:9]
	v_add_f64 v[56:57], v[50:51], -v[10:11]
	v_add_f64 v[88:89], v[50:51], v[10:11]
	v_add_f64 v[34:35], v[28:29], -v[20:21]
	v_add_f64 v[36:37], v[30:31], -v[22:23]
	;; [unrolled: 1-line block ×3, first 2 shown]
	v_add_f64 v[86:87], v[46:47], v[14:15]
	v_add_f64 v[52:53], v[70:71], -v[4:5]
	v_add_f64 v[54:55], v[68:69], -v[6:7]
	;; [unrolled: 1-line block ×3, first 2 shown]
	v_add_f64 v[90:91], v[68:69], v[6:7]
	v_add_f64 v[68:69], v[38:39], -v[26:27]
	v_add_f64 v[70:71], v[70:71], v[4:5]
	v_mul_f64 v[138:139], v[58:59], s[30:31]
	v_mul_f64 v[98:99], v[58:59], s[20:21]
	;; [unrolled: 1-line block ×5, first 2 shown]
	v_add_f64 v[48:49], v[48:49], v[80:81]
	v_add_f64 v[50:51], v[50:51], v[78:79]
	v_mul_f64 v[100:101], v[60:61], s[18:19]
	v_mul_f64 v[102:103], v[62:63], s[30:31]
	;; [unrolled: 1-line block ×16, first 2 shown]
	s_mov_b32 s31, 0xbfddbe06
	v_mul_f64 v[126:127], v[54:55], s[18:19]
	v_mul_f64 v[134:135], v[52:53], s[22:23]
	v_mul_f64 v[136:137], v[54:55], s[22:23]
	v_mul_f64 v[144:145], v[52:53], s[34:35]
	v_mul_f64 v[148:149], v[54:55], s[34:35]
	v_mul_f64 v[158:159], v[52:53], s[26:27]
	v_mul_f64 v[164:165], v[54:55], s[26:27]
	v_mul_f64 v[54:55], v[54:55], s[30:31]
	v_mul_f64 v[52:53], v[52:53], s[30:31]
	v_mul_f64 v[132:133], v[62:63], s[36:37]
	v_mul_f64 v[78:79], v[64:65], s[34:35]
	v_mul_f64 v[140:141], v[60:61], s[38:39]
	v_mul_f64 v[142:143], v[62:63], s[24:25]
	v_mul_f64 v[152:153], v[58:59], s[36:37]
	v_mul_f64 v[154:155], v[60:61], s[24:25]
	v_mul_f64 v[156:157], v[62:63], s[22:23]
	v_mul_f64 v[162:163], v[64:65], s[36:37]
	v_mul_f64 v[58:59], v[58:59], s[22:23]
	v_mul_f64 v[60:61], v[60:61], s[34:35]
	v_add_f64 v[44:45], v[44:45], v[48:49]
	v_add_f64 v[46:47], v[46:47], v[50:51]
	v_mul_f64 v[62:63], v[62:63], s[26:27]
	v_mul_f64 v[64:65], v[64:65], s[22:23]
	;; [unrolled: 1-line block ×11, first 2 shown]
	v_fma_f64 v[48:49], v[90:91], s[12:13], v[104:105]
	v_fma_f64 v[186:187], v[70:71], s[12:13], -v[110:111]
	v_fma_f64 v[104:105], v[90:91], s[12:13], -v[104:105]
	v_fma_f64 v[110:111], v[70:71], s[12:13], v[110:111]
	v_fma_f64 v[194:195], v[90:91], s[0:1], v[120:121]
	v_fma_f64 v[120:121], v[90:91], s[0:1], -v[120:121]
	v_fma_f64 v[196:197], v[70:71], s[0:1], -v[126:127]
	v_fma_f64 v[126:127], v[70:71], s[0:1], v[126:127]
	;; [unrolled: 4-line block ×5, first 2 shown]
	v_fma_f64 v[244:245], v[70:71], s[10:11], -v[54:55]
	v_fma_f64 v[54:55], v[70:71], s[10:11], v[54:55]
	v_fma_f64 v[242:243], v[90:91], s[10:11], v[52:53]
	v_fma_f64 v[52:53], v[90:91], s[10:11], -v[52:53]
	v_mul_f64 v[56:57], v[56:57], s[26:27]
	v_add_f64 v[40:41], v[40:41], v[44:45]
	v_add_f64 v[42:43], v[42:43], v[46:47]
	v_fma_f64 v[182:183], v[84:85], s[8:9], v[98:99]
	v_fma_f64 v[184:185], v[86:87], s[0:1], v[100:101]
	v_fma_f64 v[50:51], v[88:89], s[10:11], v[102:103]
	v_fma_f64 v[98:99], v[84:85], s[8:9], -v[98:99]
	v_fma_f64 v[100:101], v[86:87], s[0:1], -v[100:101]
	v_fma_f64 v[102:103], v[88:89], s[10:11], -v[102:103]
	v_fma_f64 v[188:189], v[84:85], s[12:13], v[114:115]
	v_fma_f64 v[190:191], v[86:87], s[8:9], v[116:117]
	v_fma_f64 v[192:193], v[88:89], s[4:5], v[118:119]
	v_fma_f64 v[114:115], v[84:85], s[12:13], -v[114:115]
	v_fma_f64 v[116:117], v[86:87], s[8:9], -v[116:117]
	v_fma_f64 v[118:119], v[88:89], s[4:5], -v[118:119]
	;; [unrolled: 6-line block ×5, first 2 shown]
	v_fma_f64 v[224:225], v[84:85], s[14:15], v[58:59]
	v_fma_f64 v[58:59], v[84:85], s[14:15], -v[58:59]
	v_fma_f64 v[84:85], v[86:87], s[4:5], v[60:61]
	v_fma_f64 v[60:61], v[86:87], s[4:5], -v[60:61]
	;; [unrolled: 2-line block ×3, first 2 shown]
	v_add_f64 v[40:41], v[28:29], v[40:41]
	v_add_f64 v[42:43], v[30:31], v[42:43]
	v_fma_f64 v[88:89], v[92:93], s[8:9], -v[106:107]
	v_fma_f64 v[106:107], v[92:93], s[8:9], v[106:107]
	v_fma_f64 v[226:227], v[92:93], s[12:13], -v[124:125]
	v_fma_f64 v[124:125], v[92:93], s[12:13], v[124:125]
	;; [unrolled: 2-line block ×13, first 2 shown]
	v_fma_f64 v[246:247], v[96:97], s[4:5], -v[174:175]
	v_add_f64 v[48:49], v[2:3], v[48:49]
	v_add_f64 v[186:187], v[0:1], v[186:187]
	;; [unrolled: 1-line block ×21, first 2 shown]
	v_fma_f64 v[54:55], v[96:97], s[14:15], v[180:181]
	v_fma_f64 v[250:251], v[96:97], s[12:13], -v[178:179]
	v_fma_f64 v[178:179], v[96:97], s[12:13], v[178:179]
	v_fma_f64 v[248:249], v[96:97], s[0:1], -v[176:177]
	v_fma_f64 v[176:177], v[96:97], s[0:1], v[176:177]
	v_fma_f64 v[174:175], v[96:97], s[4:5], v[174:175]
	v_add_f64 v[198:199], v[2:3], v[198:199]
	v_add_f64 v[202:203], v[2:3], v[202:203]
	;; [unrolled: 1-line block ×5, first 2 shown]
	v_fma_f64 v[52:53], v[96:97], s[14:15], -v[180:181]
	v_fma_f64 v[180:181], v[96:97], s[8:9], -v[56:57]
	v_fma_f64 v[56:57], v[96:97], s[8:9], v[56:57]
	v_add_f64 v[38:39], v[38:39], v[26:27]
	v_add_f64 v[32:33], v[32:33], v[24:25]
	v_add_f64 v[30:31], v[30:31], v[22:23]
	v_add_f64 v[48:49], v[50:51], v[48:49]
	v_add_f64 v[94:95], v[94:95], v[186:187]
	v_add_f64 v[102:103], v[102:103], v[104:105]
	v_add_f64 v[108:109], v[108:109], v[110:111]
	v_mad_u64_u32 v[186:187], null, s2, v74, 0
	v_add_f64 v[74:75], v[192:193], v[194:195]
	v_add_f64 v[194:195], v[246:247], v[196:197]
	;; [unrolled: 1-line block ×7, first 2 shown]
	v_mul_f64 v[96:97], v[34:35], s[22:23]
	v_add_f64 v[142:143], v[142:143], v[144:145]
	v_mul_f64 v[110:111], v[36:37], s[22:23]
	v_mul_f64 v[192:193], v[66:67], s[22:23]
	v_add_f64 v[156:157], v[156:157], v[158:159]
	v_mul_f64 v[42:43], v[36:37], s[28:29]
	v_mul_f64 v[246:247], v[34:35], s[26:27]
	;; [unrolled: 1-line block ×3, first 2 shown]
	v_add_f64 v[54:55], v[54:55], v[164:165]
	v_add_f64 v[204:205], v[250:251], v[204:205]
	;; [unrolled: 1-line block ×12, first 2 shown]
	v_mul_f64 v[174:175], v[34:35], s[28:29]
	v_add_f64 v[0:1], v[56:57], v[0:1]
	v_add_f64 v[56:57], v[180:181], v[244:245]
	v_mul_f64 v[176:177], v[36:37], s[26:27]
	v_mul_f64 v[216:217], v[34:35], s[16:17]
	;; [unrolled: 1-line block ×5, first 2 shown]
	v_add_f64 v[48:49], v[184:185], v[48:49]
	v_add_f64 v[92:93], v[92:93], v[94:95]
	;; [unrolled: 1-line block ×10, first 2 shown]
	v_mul_f64 v[104:105], v[68:69], s[16:17]
	v_add_f64 v[132:133], v[140:141], v[142:143]
	v_mul_f64 v[196:197], v[68:69], s[22:23]
	v_mul_f64 v[120:121], v[66:67], s[20:21]
	v_add_f64 v[140:141], v[154:155], v[156:157]
	v_mul_f64 v[214:215], v[68:69], s[20:21]
	v_mul_f64 v[40:41], v[66:67], s[18:19]
	;; [unrolled: 1-line block ×3, first 2 shown]
	v_add_f64 v[54:55], v[90:91], v[54:55]
	v_mul_f64 v[66:67], v[66:67], s[24:25]
	v_add_f64 v[90:91], v[170:171], v[148:149]
	v_mul_f64 v[68:69], v[68:69], s[24:25]
	v_add_f64 v[80:81], v[80:81], v[136:137]
	v_add_f64 v[116:117], v[168:169], v[126:127]
	;; [unrolled: 1-line block ×12, first 2 shown]
	v_fma_f64 v[178:179], v[30:31], s[14:15], v[96:97]
	v_fma_f64 v[164:165], v[28:29], s[14:15], -v[110:111]
	v_fma_f64 v[96:97], v[30:31], s[14:15], -v[96:97]
	v_fma_f64 v[110:111], v[28:29], s[14:15], v[110:111]
	v_fma_f64 v[222:223], v[38:39], s[14:15], v[192:193]
	;; [unrolled: 1-line block ×3, first 2 shown]
	v_fma_f64 v[62:63], v[28:29], s[10:11], -v[122:123]
	v_fma_f64 v[24:25], v[38:39], s[14:15], -v[192:193]
	;; [unrolled: 1-line block ×3, first 2 shown]
	v_fma_f64 v[122:123], v[28:29], s[10:11], v[122:123]
	v_add_f64 v[16:17], v[16:17], v[20:21]
	v_add_f64 v[18:19], v[18:19], v[22:23]
	v_fma_f64 v[192:193], v[30:31], s[12:13], v[174:175]
	v_fma_f64 v[244:245], v[28:29], s[12:13], -v[42:43]
	v_fma_f64 v[174:175], v[30:31], s[12:13], -v[174:175]
	v_fma_f64 v[42:43], v[28:29], s[12:13], v[42:43]
	v_fma_f64 v[20:21], v[30:31], s[8:9], v[246:247]
	v_fma_f64 v[22:23], v[28:29], s[8:9], -v[176:177]
	v_fma_f64 v[60:61], v[30:31], s[8:9], -v[246:247]
	v_fma_f64 v[82:83], v[28:29], s[8:9], v[176:177]
	;; [unrolled: 4-line block ×4, first 2 shown]
	v_add_f64 v[34:35], v[182:183], v[48:49]
	v_add_f64 v[36:37], v[88:89], v[92:93]
	;; [unrolled: 1-line block ×26, first 2 shown]
	v_fma_f64 v[144:145], v[38:39], s[4:5], v[50:51]
	v_fma_f64 v[158:159], v[32:33], s[4:5], -v[104:105]
	v_fma_f64 v[50:51], v[38:39], s[4:5], -v[50:51]
	v_fma_f64 v[104:105], v[32:33], s[4:5], v[104:105]
	v_fma_f64 v[242:243], v[32:33], s[14:15], -v[196:197]
	v_fma_f64 v[112:113], v[32:33], s[14:15], v[196:197]
	v_fma_f64 v[180:181], v[38:39], s[8:9], v[120:121]
	v_fma_f64 v[196:197], v[32:33], s[8:9], -v[214:215]
	v_fma_f64 v[120:121], v[38:39], s[8:9], -v[120:121]
	v_fma_f64 v[214:215], v[32:33], s[8:9], v[214:215]
	v_fma_f64 v[58:59], v[38:39], s[0:1], v[40:41]
	v_fma_f64 v[64:65], v[32:33], s[0:1], -v[134:135]
	v_fma_f64 v[40:41], v[38:39], s[0:1], -v[40:41]
	v_fma_f64 v[116:117], v[32:33], s[0:1], v[134:135]
	v_fma_f64 v[118:119], v[38:39], s[10:11], v[150:151]
	v_fma_f64 v[124:125], v[32:33], s[10:11], -v[160:161]
	v_fma_f64 v[126:127], v[38:39], s[10:11], -v[150:151]
	v_fma_f64 v[128:129], v[32:33], s[10:11], v[160:161]
	v_fma_f64 v[130:131], v[38:39], s[12:13], v[66:67]
	v_fma_f64 v[132:133], v[32:33], s[12:13], -v[68:69]
	v_fma_f64 v[66:67], v[38:39], s[12:13], -v[66:67]
	v_fma_f64 v[68:69], v[32:33], s[12:13], v[68:69]
	v_add_f64 v[16:17], v[178:179], v[34:35]
	v_add_f64 v[32:33], v[96:97], v[48:49]
	v_add_f64 v[34:35], v[110:111], v[88:89]
	v_add_f64 v[38:39], v[62:63], v[92:93]
	v_add_f64 v[92:93], v[148:149], v[114:115]
	v_add_f64 v[54:55], v[154:155], v[54:55]
	v_add_f64 v[60:61], v[60:61], v[108:109]
	v_add_f64 v[82:83], v[82:83], v[90:91]
	v_add_f64 v[18:19], v[164:165], v[36:37]
	v_add_f64 v[26:27], v[26:27], v[94:95]
	v_add_f64 v[88:89], v[174:175], v[106:107]
	v_add_f64 v[42:43], v[42:43], v[78:79]
	v_add_f64 v[48:49], v[122:123], v[98:99]
	v_add_f64 v[36:37], v[208:209], v[74:75]
	v_add_f64 v[62:63], v[192:193], v[100:101]
	v_add_f64 v[74:75], v[244:245], v[102:103]
	v_add_f64 v[44:45], v[20:21], v[44:45]
	v_add_f64 v[46:47], v[22:23], v[46:47]
	v_add_f64 v[78:79], v[84:85], v[80:81]
	v_add_f64 v[52:53], v[86:87], v[52:53]
	v_add_f64 v[80:81], v[30:31], v[2:3]
	v_add_f64 v[84:85], v[28:29], v[0:1]
	v_add_f64 v[86:87], v[10:11], v[14:15]
	v_add_f64 v[90:91], v[8:9], v[12:13]
	v_add_f64 v[70:71], v[156:157], v[70:71]
	v_add_f64 v[56:57], v[166:167], v[56:57]
	v_add3_u32 v187, v187, v253, v252
	s_delay_alu instid0(VALU_DEP_1)
	v_lshlrev_b64 v[94:95], 4, v[186:187]
	v_add_f64 v[2:3], v[144:145], v[16:17]
	v_add_f64 v[10:11], v[50:51], v[32:33]
	v_add_f64 v[8:9], v[104:105], v[34:35]
	v_add_f64 v[12:13], v[242:243], v[38:39]
	v_add_f64 v[34:35], v[126:127], v[92:93]
	v_add_f64 v[32:33], v[128:129], v[54:55]
	v_add_f64 v[30:31], v[40:41], v[60:61]
	v_add_f64 v[28:29], v[116:117], v[82:83]
	v_add_f64 v[0:1], v[158:159], v[18:19]
	v_add_f64 v[18:19], v[24:25], v[26:27]
	v_add_f64 v[26:27], v[120:121], v[88:89]
	v_add_f64 v[24:25], v[214:215], v[42:43]
	v_add_f64 v[16:17], v[112:113], v[48:49]
	v_add_f64 v[14:15], v[222:223], v[36:37]
	v_add_f64 v[22:23], v[180:181], v[62:63]
	v_add_f64 v[20:21], v[196:197], v[74:75]
	v_add_f64 v[38:39], v[58:59], v[44:45]
	v_add_f64 v[36:37], v[64:65], v[46:47]
	v_add_f64 v[42:43], v[118:119], v[78:79]
	v_add_f64 v[40:41], v[124:125], v[52:53]
	v_add_f64 v[50:51], v[66:67], v[80:81]
	v_add_f64 v[48:49], v[68:69], v[84:85]
	v_add_f64 v[6:7], v[6:7], v[86:87]
	v_add_f64 v[4:5], v[4:5], v[90:91]
	v_add_f64 v[46:47], v[130:131], v[70:71]
	v_add_f64 v[44:45], v[132:133], v[56:57]
	v_add_co_u32 v54, vcc_lo, s6, v94
	v_add_co_ci_u32_e32 v55, vcc_lo, s7, v95, vcc_lo
	v_lshlrev_b64 v[52:53], 4, v[76:77]
	s_delay_alu instid0(VALU_DEP_3) | instskip(NEXT) | instid1(VALU_DEP_3)
	v_add_co_u32 v54, vcc_lo, v54, v72
	v_add_co_ci_u32_e32 v55, vcc_lo, v55, v73, vcc_lo
	s_delay_alu instid0(VALU_DEP_2) | instskip(NEXT) | instid1(VALU_DEP_2)
	v_add_co_u32 v52, vcc_lo, v54, v52
	v_add_co_ci_u32_e32 v53, vcc_lo, v55, v53, vcc_lo
	s_delay_alu instid0(VALU_DEP_2) | instskip(NEXT) | instid1(VALU_DEP_2)
	v_add_co_u32 v54, vcc_lo, 0x1000, v52
	v_add_co_ci_u32_e32 v55, vcc_lo, 0, v53, vcc_lo
	v_add_co_u32 v56, vcc_lo, 0x2000, v52
	v_add_co_ci_u32_e32 v57, vcc_lo, 0, v53, vcc_lo
	;; [unrolled: 2-line block ×3, first 2 shown]
	s_clause 0xc
	global_store_b128 v[52:53], v[32:35], off offset:2496
	global_store_b128 v[52:53], v[28:31], off offset:3744
	;; [unrolled: 1-line block ×11, first 2 shown]
	global_store_b128 v[52:53], v[4:7], off
	global_store_b128 v[58:59], v[44:47], off offset:2688
.LBB0_19:
	s_nop 0
	s_sendmsg sendmsg(MSG_DEALLOC_VGPRS)
	s_endpgm
	.section	.rodata,"a",@progbits
	.p2align	6, 0x0
	.amdhsa_kernel fft_rtc_back_len1014_factors_13_6_13_wgs_156_tpt_78_dp_op_CI_CI_unitstride_sbrr_dirReg
		.amdhsa_group_segment_fixed_size 0
		.amdhsa_private_segment_fixed_size 0
		.amdhsa_kernarg_size 104
		.amdhsa_user_sgpr_count 15
		.amdhsa_user_sgpr_dispatch_ptr 0
		.amdhsa_user_sgpr_queue_ptr 0
		.amdhsa_user_sgpr_kernarg_segment_ptr 1
		.amdhsa_user_sgpr_dispatch_id 0
		.amdhsa_user_sgpr_private_segment_size 0
		.amdhsa_wavefront_size32 1
		.amdhsa_uses_dynamic_stack 0
		.amdhsa_enable_private_segment 0
		.amdhsa_system_sgpr_workgroup_id_x 1
		.amdhsa_system_sgpr_workgroup_id_y 0
		.amdhsa_system_sgpr_workgroup_id_z 0
		.amdhsa_system_sgpr_workgroup_info 0
		.amdhsa_system_vgpr_workitem_id 0
		.amdhsa_next_free_vgpr 256
		.amdhsa_next_free_sgpr 42
		.amdhsa_reserve_vcc 1
		.amdhsa_float_round_mode_32 0
		.amdhsa_float_round_mode_16_64 0
		.amdhsa_float_denorm_mode_32 3
		.amdhsa_float_denorm_mode_16_64 3
		.amdhsa_dx10_clamp 1
		.amdhsa_ieee_mode 1
		.amdhsa_fp16_overflow 0
		.amdhsa_workgroup_processor_mode 1
		.amdhsa_memory_ordered 1
		.amdhsa_forward_progress 0
		.amdhsa_shared_vgpr_count 0
		.amdhsa_exception_fp_ieee_invalid_op 0
		.amdhsa_exception_fp_denorm_src 0
		.amdhsa_exception_fp_ieee_div_zero 0
		.amdhsa_exception_fp_ieee_overflow 0
		.amdhsa_exception_fp_ieee_underflow 0
		.amdhsa_exception_fp_ieee_inexact 0
		.amdhsa_exception_int_div_zero 0
	.end_amdhsa_kernel
	.text
.Lfunc_end0:
	.size	fft_rtc_back_len1014_factors_13_6_13_wgs_156_tpt_78_dp_op_CI_CI_unitstride_sbrr_dirReg, .Lfunc_end0-fft_rtc_back_len1014_factors_13_6_13_wgs_156_tpt_78_dp_op_CI_CI_unitstride_sbrr_dirReg
                                        ; -- End function
	.section	.AMDGPU.csdata,"",@progbits
; Kernel info:
; codeLenInByte = 12404
; NumSgprs: 44
; NumVgprs: 256
; ScratchSize: 0
; MemoryBound: 1
; FloatMode: 240
; IeeeMode: 1
; LDSByteSize: 0 bytes/workgroup (compile time only)
; SGPRBlocks: 5
; VGPRBlocks: 31
; NumSGPRsForWavesPerEU: 44
; NumVGPRsForWavesPerEU: 256
; Occupancy: 5
; WaveLimiterHint : 1
; COMPUTE_PGM_RSRC2:SCRATCH_EN: 0
; COMPUTE_PGM_RSRC2:USER_SGPR: 15
; COMPUTE_PGM_RSRC2:TRAP_HANDLER: 0
; COMPUTE_PGM_RSRC2:TGID_X_EN: 1
; COMPUTE_PGM_RSRC2:TGID_Y_EN: 0
; COMPUTE_PGM_RSRC2:TGID_Z_EN: 0
; COMPUTE_PGM_RSRC2:TIDIG_COMP_CNT: 0
	.text
	.p2alignl 7, 3214868480
	.fill 96, 4, 3214868480
	.type	__hip_cuid_47d8e62482f40732,@object ; @__hip_cuid_47d8e62482f40732
	.section	.bss,"aw",@nobits
	.globl	__hip_cuid_47d8e62482f40732
__hip_cuid_47d8e62482f40732:
	.byte	0                               ; 0x0
	.size	__hip_cuid_47d8e62482f40732, 1

	.ident	"AMD clang version 19.0.0git (https://github.com/RadeonOpenCompute/llvm-project roc-6.4.0 25133 c7fe45cf4b819c5991fe208aaa96edf142730f1d)"
	.section	".note.GNU-stack","",@progbits
	.addrsig
	.addrsig_sym __hip_cuid_47d8e62482f40732
	.amdgpu_metadata
---
amdhsa.kernels:
  - .args:
      - .actual_access:  read_only
        .address_space:  global
        .offset:         0
        .size:           8
        .value_kind:     global_buffer
      - .offset:         8
        .size:           8
        .value_kind:     by_value
      - .actual_access:  read_only
        .address_space:  global
        .offset:         16
        .size:           8
        .value_kind:     global_buffer
      - .actual_access:  read_only
        .address_space:  global
        .offset:         24
        .size:           8
        .value_kind:     global_buffer
      - .actual_access:  read_only
        .address_space:  global
        .offset:         32
        .size:           8
        .value_kind:     global_buffer
      - .offset:         40
        .size:           8
        .value_kind:     by_value
      - .actual_access:  read_only
        .address_space:  global
        .offset:         48
        .size:           8
        .value_kind:     global_buffer
      - .actual_access:  read_only
        .address_space:  global
        .offset:         56
        .size:           8
        .value_kind:     global_buffer
      - .offset:         64
        .size:           4
        .value_kind:     by_value
      - .actual_access:  read_only
        .address_space:  global
        .offset:         72
        .size:           8
        .value_kind:     global_buffer
      - .actual_access:  read_only
        .address_space:  global
        .offset:         80
        .size:           8
        .value_kind:     global_buffer
      - .actual_access:  read_only
        .address_space:  global
        .offset:         88
        .size:           8
        .value_kind:     global_buffer
      - .actual_access:  write_only
        .address_space:  global
        .offset:         96
        .size:           8
        .value_kind:     global_buffer
    .group_segment_fixed_size: 0
    .kernarg_segment_align: 8
    .kernarg_segment_size: 104
    .language:       OpenCL C
    .language_version:
      - 2
      - 0
    .max_flat_workgroup_size: 156
    .name:           fft_rtc_back_len1014_factors_13_6_13_wgs_156_tpt_78_dp_op_CI_CI_unitstride_sbrr_dirReg
    .private_segment_fixed_size: 0
    .sgpr_count:     44
    .sgpr_spill_count: 0
    .symbol:         fft_rtc_back_len1014_factors_13_6_13_wgs_156_tpt_78_dp_op_CI_CI_unitstride_sbrr_dirReg.kd
    .uniform_work_group_size: 1
    .uses_dynamic_stack: false
    .vgpr_count:     256
    .vgpr_spill_count: 0
    .wavefront_size: 32
    .workgroup_processor_mode: 1
amdhsa.target:   amdgcn-amd-amdhsa--gfx1100
amdhsa.version:
  - 1
  - 2
...

	.end_amdgpu_metadata
